;; amdgpu-corpus repo=ROCm/rocFFT kind=compiled arch=gfx906 opt=O3
	.text
	.amdgcn_target "amdgcn-amd-amdhsa--gfx906"
	.amdhsa_code_object_version 6
	.protected	fft_rtc_back_len108_factors_6_6_3_wgs_576_tpt_36_dp_ip_CI_sbcc_dirReg ; -- Begin function fft_rtc_back_len108_factors_6_6_3_wgs_576_tpt_36_dp_ip_CI_sbcc_dirReg
	.globl	fft_rtc_back_len108_factors_6_6_3_wgs_576_tpt_36_dp_ip_CI_sbcc_dirReg
	.p2align	8
	.type	fft_rtc_back_len108_factors_6_6_3_wgs_576_tpt_36_dp_ip_CI_sbcc_dirReg,@function
fft_rtc_back_len108_factors_6_6_3_wgs_576_tpt_36_dp_ip_CI_sbcc_dirReg: ; @fft_rtc_back_len108_factors_6_6_3_wgs_576_tpt_36_dp_ip_CI_sbcc_dirReg
; %bb.0:
	s_load_dwordx4 s[0:3], s[4:5], 0x18
	s_mov_b32 s7, 0
	s_mov_b64 s[24:25], 0
	s_waitcnt lgkmcnt(0)
	s_load_dwordx2 s[14:15], s[0:1], 0x8
	s_waitcnt lgkmcnt(0)
	s_add_u32 s8, s14, -1
	s_addc_u32 s9, s15, -1
	s_lshr_b64 s[8:9], s[8:9], 4
	s_add_u32 s20, s8, 1
	s_addc_u32 s21, s9, 0
	v_mov_b32_e32 v1, s20
	v_mov_b32_e32 v2, s21
	v_cmp_lt_u64_e32 vcc, s[6:7], v[1:2]
	s_cbranch_vccnz .LBB0_2
; %bb.1:
	v_cvt_f32_u32_e32 v1, s20
	s_sub_i32 s8, 0, s20
	s_mov_b32 s25, s7
	v_rcp_iflag_f32_e32 v1, v1
	v_mul_f32_e32 v1, 0x4f7ffffe, v1
	v_cvt_u32_f32_e32 v1, v1
	v_readfirstlane_b32 s9, v1
	s_mul_i32 s8, s8, s9
	s_mul_hi_u32 s8, s9, s8
	s_add_i32 s9, s9, s8
	s_mul_hi_u32 s8, s6, s9
	s_mul_i32 s10, s8, s20
	s_sub_i32 s10, s6, s10
	s_add_i32 s9, s8, 1
	s_sub_i32 s11, s10, s20
	s_cmp_ge_u32 s10, s20
	s_cselect_b32 s8, s9, s8
	s_cselect_b32 s10, s11, s10
	s_add_i32 s9, s8, 1
	s_cmp_ge_u32 s10, s20
	s_cselect_b32 s24, s9, s8
.LBB0_2:
	s_load_dwordx2 s[16:17], s[4:5], 0x0
	s_load_dwordx4 s[8:11], s[2:3], 0x0
	s_mul_i32 s12, s24, s21
	s_mul_hi_u32 s13, s24, s20
	s_add_i32 s13, s13, s12
	s_mul_i32 s12, s24, s20
	s_sub_u32 s18, s6, s12
	s_subb_u32 s19, 0, s13
	v_mov_b32_e32 v1, s18
	v_alignbit_b32 v1, s19, v1, 28
	s_waitcnt lgkmcnt(0)
	v_mul_lo_u32 v1, s10, v1
	s_load_dwordx2 s[12:13], s[4:5], 0x58
	s_load_dwordx2 s[22:23], s[4:5], 0x10
	s_lshl_b64 s[18:19], s[18:19], 4
	s_mul_hi_u32 s4, s10, s18
	v_add_u32_e32 v1, s4, v1
	s_mul_i32 s4, s11, s18
	v_add_u32_e32 v3, s4, v1
	s_waitcnt lgkmcnt(0)
	v_cmp_lt_u64_e64 s[4:5], s[22:23], 3
	s_mul_i32 s26, s10, s18
	v_mov_b32_e32 v4, s26
	s_and_b64 vcc, exec, s[4:5]
	s_cbranch_vccnz .LBB0_11
; %bb.3:
	s_add_u32 s4, s2, 16
	s_addc_u32 s5, s3, 0
	s_add_u32 s26, s0, 16
	v_mov_b32_e32 v1, s22
	s_addc_u32 s27, s1, 0
	s_mov_b64 s[28:29], 2
	s_mov_b32 s30, 0
	v_mov_b32_e32 v2, s23
	s_branch .LBB0_5
.LBB0_4:                                ;   in Loop: Header=BB0_5 Depth=1
	s_mul_i32 s21, s34, s21
	s_mul_hi_u32 s31, s34, s20
	s_add_i32 s21, s31, s21
	s_mul_i32 s31, s35, s20
	s_add_i32 s21, s21, s31
	s_mul_i32 s31, s0, s35
	s_mul_hi_u32 s33, s0, s34
	s_load_dwordx2 s[36:37], s[4:5], 0x0
	s_add_i32 s31, s33, s31
	s_mul_i32 s33, s1, s34
	s_add_i32 s31, s31, s33
	s_mul_i32 s33, s0, s34
	s_sub_u32 s24, s24, s33
	s_subb_u32 s25, s25, s31
	s_waitcnt lgkmcnt(0)
	s_mul_i32 s25, s36, s25
	s_mul_hi_u32 s31, s36, s24
	s_add_i32 s25, s31, s25
	s_mul_i32 s31, s37, s24
	s_add_i32 s25, s25, s31
	s_mul_i32 s24, s36, s24
	s_add_u32 s28, s28, 1
	v_mov_b32_e32 v5, s25
	v_add_co_u32_e32 v4, vcc, s24, v4
	s_addc_u32 s29, s29, 0
	v_addc_co_u32_e32 v3, vcc, v5, v3, vcc
	s_add_u32 s4, s4, 8
	s_addc_u32 s5, s5, 0
	v_cmp_ge_u64_e32 vcc, s[28:29], v[1:2]
	s_add_u32 s26, s26, 8
	s_mul_i32 s20, s34, s20
	s_addc_u32 s27, s27, 0
	s_mov_b64 s[24:25], s[0:1]
	s_cbranch_vccnz .LBB0_9
.LBB0_5:                                ; =>This Inner Loop Header: Depth=1
	s_load_dwordx2 s[34:35], s[26:27], 0x0
	s_waitcnt lgkmcnt(0)
	s_or_b64 s[0:1], s[24:25], s[34:35]
	s_mov_b32 s31, s1
	s_cmp_lg_u64 s[30:31], 0
	s_cbranch_scc0 .LBB0_7
; %bb.6:                                ;   in Loop: Header=BB0_5 Depth=1
	v_cvt_f32_u32_e32 v5, s34
	v_cvt_f32_u32_e32 v6, s35
	s_sub_u32 s0, 0, s34
	s_subb_u32 s1, 0, s35
	v_mac_f32_e32 v5, 0x4f800000, v6
	v_rcp_f32_e32 v5, v5
	v_mul_f32_e32 v5, 0x5f7ffffc, v5
	v_mul_f32_e32 v6, 0x2f800000, v5
	v_trunc_f32_e32 v6, v6
	v_mac_f32_e32 v5, 0xcf800000, v6
	v_cvt_u32_f32_e32 v6, v6
	v_cvt_u32_f32_e32 v5, v5
	v_readfirstlane_b32 s31, v6
	v_readfirstlane_b32 s33, v5
	s_mul_i32 s36, s0, s31
	s_mul_hi_u32 s38, s0, s33
	s_mul_i32 s37, s1, s33
	s_add_i32 s36, s38, s36
	s_mul_i32 s39, s0, s33
	s_add_i32 s36, s36, s37
	s_mul_hi_u32 s37, s33, s36
	s_mul_i32 s38, s33, s36
	s_mul_hi_u32 s33, s33, s39
	s_add_u32 s33, s33, s38
	s_addc_u32 s37, 0, s37
	s_mul_hi_u32 s40, s31, s39
	s_mul_i32 s39, s31, s39
	s_add_u32 s33, s33, s39
	s_mul_hi_u32 s38, s31, s36
	s_addc_u32 s33, s37, s40
	s_addc_u32 s37, s38, 0
	s_mul_i32 s36, s31, s36
	s_add_u32 s33, s33, s36
	s_addc_u32 s36, 0, s37
	v_add_co_u32_e32 v5, vcc, s33, v5
	s_cmp_lg_u64 vcc, 0
	s_addc_u32 s31, s31, s36
	v_readfirstlane_b32 s36, v5
	s_mul_i32 s33, s0, s31
	s_mul_hi_u32 s37, s0, s36
	s_add_i32 s33, s37, s33
	s_mul_i32 s1, s1, s36
	s_add_i32 s33, s33, s1
	s_mul_i32 s0, s0, s36
	s_mul_hi_u32 s37, s31, s0
	s_mul_i32 s38, s31, s0
	s_mul_i32 s40, s36, s33
	s_mul_hi_u32 s0, s36, s0
	s_mul_hi_u32 s39, s36, s33
	s_add_u32 s0, s0, s40
	s_addc_u32 s36, 0, s39
	s_add_u32 s0, s0, s38
	s_mul_hi_u32 s1, s31, s33
	s_addc_u32 s0, s36, s37
	s_addc_u32 s1, s1, 0
	s_mul_i32 s33, s31, s33
	s_add_u32 s0, s0, s33
	s_addc_u32 s1, 0, s1
	v_add_co_u32_e32 v5, vcc, s0, v5
	s_cmp_lg_u64 vcc, 0
	s_addc_u32 s0, s31, s1
	v_readfirstlane_b32 s33, v5
	s_mul_i32 s31, s24, s0
	s_mul_hi_u32 s36, s24, s33
	s_mul_hi_u32 s1, s24, s0
	s_add_u32 s31, s36, s31
	s_addc_u32 s1, 0, s1
	s_mul_hi_u32 s37, s25, s33
	s_mul_i32 s33, s25, s33
	s_add_u32 s31, s31, s33
	s_mul_hi_u32 s36, s25, s0
	s_addc_u32 s1, s1, s37
	s_addc_u32 s31, s36, 0
	s_mul_i32 s0, s25, s0
	s_add_u32 s33, s1, s0
	s_addc_u32 s31, 0, s31
	s_mul_i32 s0, s34, s31
	s_mul_hi_u32 s1, s34, s33
	s_add_i32 s0, s1, s0
	s_mul_i32 s1, s35, s33
	s_add_i32 s36, s0, s1
	s_mul_i32 s1, s34, s33
	v_mov_b32_e32 v5, s1
	s_sub_i32 s0, s25, s36
	v_sub_co_u32_e32 v5, vcc, s24, v5
	s_cmp_lg_u64 vcc, 0
	s_subb_u32 s37, s0, s35
	v_subrev_co_u32_e64 v6, s[0:1], s34, v5
	s_cmp_lg_u64 s[0:1], 0
	s_subb_u32 s0, s37, 0
	s_cmp_ge_u32 s0, s35
	v_readfirstlane_b32 s37, v6
	s_cselect_b32 s1, -1, 0
	s_cmp_ge_u32 s37, s34
	s_cselect_b32 s37, -1, 0
	s_cmp_eq_u32 s0, s35
	s_cselect_b32 s0, s37, s1
	s_add_u32 s1, s33, 1
	s_addc_u32 s37, s31, 0
	s_add_u32 s38, s33, 2
	s_addc_u32 s39, s31, 0
	s_cmp_lg_u32 s0, 0
	s_cselect_b32 s0, s38, s1
	s_cselect_b32 s1, s39, s37
	s_cmp_lg_u64 vcc, 0
	s_subb_u32 s36, s25, s36
	s_cmp_ge_u32 s36, s35
	v_readfirstlane_b32 s38, v5
	s_cselect_b32 s37, -1, 0
	s_cmp_ge_u32 s38, s34
	s_cselect_b32 s38, -1, 0
	s_cmp_eq_u32 s36, s35
	s_cselect_b32 s36, s38, s37
	s_cmp_lg_u32 s36, 0
	s_cselect_b32 s1, s1, s31
	s_cselect_b32 s0, s0, s33
	s_cbranch_execnz .LBB0_4
	s_branch .LBB0_8
.LBB0_7:                                ;   in Loop: Header=BB0_5 Depth=1
                                        ; implicit-def: $sgpr0_sgpr1
.LBB0_8:                                ;   in Loop: Header=BB0_5 Depth=1
	v_cvt_f32_u32_e32 v5, s34
	s_sub_i32 s0, 0, s34
	v_rcp_iflag_f32_e32 v5, v5
	v_mul_f32_e32 v5, 0x4f7ffffe, v5
	v_cvt_u32_f32_e32 v5, v5
	v_readfirstlane_b32 s1, v5
	s_mul_i32 s0, s0, s1
	s_mul_hi_u32 s0, s1, s0
	s_add_i32 s1, s1, s0
	s_mul_hi_u32 s0, s24, s1
	s_mul_i32 s31, s0, s34
	s_sub_i32 s31, s24, s31
	s_add_i32 s1, s0, 1
	s_sub_i32 s33, s31, s34
	s_cmp_ge_u32 s31, s34
	s_cselect_b32 s0, s1, s0
	s_cselect_b32 s31, s33, s31
	s_add_i32 s1, s0, 1
	s_cmp_ge_u32 s31, s34
	s_cselect_b32 s0, s1, s0
	s_mov_b32 s1, s30
	s_branch .LBB0_4
.LBB0_9:
	v_mov_b32_e32 v1, s20
	v_mov_b32_e32 v2, s21
	v_cmp_lt_u64_e32 vcc, s[6:7], v[1:2]
	s_mov_b64 s[24:25], 0
	s_cbranch_vccnz .LBB0_11
; %bb.10:
	v_cvt_f32_u32_e32 v1, s20
	s_sub_i32 s0, 0, s20
	v_rcp_iflag_f32_e32 v1, v1
	v_mul_f32_e32 v1, 0x4f7ffffe, v1
	v_cvt_u32_f32_e32 v1, v1
	v_readfirstlane_b32 s1, v1
	s_mul_i32 s0, s0, s1
	s_mul_hi_u32 s0, s1, s0
	s_add_i32 s1, s1, s0
	s_mul_hi_u32 s0, s6, s1
	s_mul_i32 s4, s0, s20
	s_sub_i32 s4, s6, s4
	s_add_i32 s1, s0, 1
	s_sub_i32 s5, s4, s20
	s_cmp_ge_u32 s4, s20
	s_cselect_b32 s0, s1, s0
	s_cselect_b32 s4, s5, s4
	s_add_i32 s1, s0, 1
	s_cmp_ge_u32 s4, s20
	s_cselect_b32 s24, s1, s0
.LBB0_11:
	s_lshl_b64 s[0:1], s[22:23], 3
	s_add_u32 s0, s2, s0
	s_addc_u32 s1, s3, s1
	s_load_dwordx2 s[0:1], s[0:1], 0x0
	v_and_b32_e32 v29, 15, v0
	v_lshrrev_b32_e32 v30, 4, v0
                                        ; implicit-def: $vgpr19_vgpr20
                                        ; implicit-def: $vgpr15_vgpr16
                                        ; implicit-def: $vgpr23_vgpr24
                                        ; implicit-def: $vgpr11_vgpr12
                                        ; implicit-def: $vgpr7_vgpr8
	s_waitcnt lgkmcnt(0)
	s_mul_i32 s1, s1, s24
	s_mul_hi_u32 s2, s0, s24
	s_mul_i32 s0, s0, s24
	s_add_i32 s1, s2, s1
	v_mov_b32_e32 v2, s1
	v_add_co_u32_e32 v1, vcc, s0, v4
	v_addc_co_u32_e32 v2, vcc, v2, v3, vcc
	s_add_u32 s0, s18, 16
	v_mov_b32_e32 v3, s14
	s_addc_u32 s1, s19, 0
	v_mov_b32_e32 v4, s15
	v_cmp_gt_u64_e32 vcc, s[0:1], v[3:4]
	v_cmp_le_u64_e64 s[0:1], s[0:1], v[3:4]
	s_movk_i32 s2, 0x120
	v_cmp_gt_u32_e64 s[2:3], s2, v0
	v_lshlrev_b64 v[25:26], 4, v[1:2]
	s_and_b64 s[4:5], s[2:3], s[0:1]
                                        ; implicit-def: $vgpr3_vgpr4
	s_and_saveexec_b64 s[6:7], s[4:5]
	s_cbranch_execz .LBB0_13
; %bb.12:
	v_mad_u64_u32 v[1:2], s[4:5], s10, v29, 0
	v_mad_u64_u32 v[3:4], s[4:5], s8, v30, 0
	v_add_u32_e32 v9, 18, v30
	v_mad_u64_u32 v[5:6], s[4:5], s11, v29, v[2:3]
	v_mov_b32_e32 v2, v4
	v_mad_u64_u32 v[6:7], s[4:5], s9, v30, v[2:3]
	v_mov_b32_e32 v2, v5
	v_mov_b32_e32 v5, s13
	v_add_co_u32_e64 v7, s[4:5], s12, v25
	v_mov_b32_e32 v4, v6
	v_addc_co_u32_e64 v8, s[4:5], v5, v26, s[4:5]
	v_mad_u64_u32 v[5:6], s[4:5], s8, v9, 0
	v_lshlrev_b64 v[1:2], 4, v[1:2]
	v_add_co_u32_e64 v16, s[4:5], v7, v1
	v_addc_co_u32_e64 v17, s[4:5], v8, v2, s[4:5]
	v_lshlrev_b64 v[1:2], 4, v[3:4]
	v_mov_b32_e32 v3, v6
	v_mad_u64_u32 v[3:4], s[4:5], s9, v9, v[3:4]
	v_add_u32_e32 v4, 36, v30
	v_mad_u64_u32 v[7:8], s[4:5], s8, v4, 0
	v_add_co_u32_e64 v9, s[4:5], v16, v1
	v_mov_b32_e32 v6, v3
	v_mov_b32_e32 v3, v8
	v_addc_co_u32_e64 v10, s[4:5], v17, v2, s[4:5]
	v_lshlrev_b64 v[1:2], 4, v[5:6]
	v_mad_u64_u32 v[3:4], s[4:5], s9, v4, v[3:4]
	v_add_u32_e32 v6, 54, v30
	v_mad_u64_u32 v[4:5], s[4:5], s8, v6, 0
	v_add_co_u32_e64 v11, s[4:5], v16, v1
	v_mov_b32_e32 v8, v3
	v_mov_b32_e32 v3, v5
	v_addc_co_u32_e64 v12, s[4:5], v17, v2, s[4:5]
	v_lshlrev_b64 v[1:2], 4, v[7:8]
	v_mad_u64_u32 v[5:6], s[4:5], s9, v6, v[3:4]
	v_add_u32_e32 v8, 0x48, v30
	v_mad_u64_u32 v[6:7], s[4:5], s8, v8, 0
	v_add_co_u32_e64 v27, s[4:5], v16, v1
	v_mov_b32_e32 v3, v7
	v_addc_co_u32_e64 v28, s[4:5], v17, v2, s[4:5]
	v_lshlrev_b64 v[1:2], 4, v[4:5]
	v_mad_u64_u32 v[3:4], s[4:5], s9, v8, v[3:4]
	v_add_u32_e32 v4, 0x5a, v30
	v_mad_u64_u32 v[13:14], s[4:5], s8, v4, 0
	v_add_co_u32_e64 v31, s[4:5], v16, v1
	v_mov_b32_e32 v7, v3
	v_mov_b32_e32 v3, v14
	v_addc_co_u32_e64 v32, s[4:5], v17, v2, s[4:5]
	v_mad_u64_u32 v[14:15], s[4:5], s9, v4, v[3:4]
	v_lshlrev_b64 v[1:2], 4, v[6:7]
	v_add_co_u32_e64 v33, s[4:5], v16, v1
	v_addc_co_u32_e64 v34, s[4:5], v17, v2, s[4:5]
	global_load_dwordx4 v[1:4], v[9:10], off
	global_load_dwordx4 v[5:8], v[11:12], off
	v_lshlrev_b64 v[9:10], 4, v[13:14]
	v_add_co_u32_e64 v35, s[4:5], v16, v9
	v_addc_co_u32_e64 v36, s[4:5], v17, v10, s[4:5]
	global_load_dwordx4 v[9:12], v[27:28], off
	global_load_dwordx4 v[21:24], v[31:32], off
	;; [unrolled: 1-line block ×4, first 2 shown]
.LBB0_13:
	s_or_b64 exec, exec, s[6:7]
	s_andn2_b64 vcc, exec, vcc
	v_or_b32_e32 v27, s18, v29
	s_cbranch_vccnz .LBB0_17
; %bb.14:
	v_mov_b32_e32 v28, s19
	v_cmp_gt_u64_e32 vcc, s[14:15], v[27:28]
	s_and_b64 s[6:7], s[2:3], vcc
	s_and_saveexec_b64 s[4:5], s[6:7]
	s_cbranch_execz .LBB0_16
; %bb.15:
	s_waitcnt vmcnt(5)
	v_mad_u64_u32 v[1:2], s[6:7], s10, v29, 0
	v_mad_u64_u32 v[3:4], s[6:7], s8, v30, 0
	s_waitcnt vmcnt(3)
	v_add_u32_e32 v9, 18, v30
	s_waitcnt vmcnt(0)
	v_add_u32_e32 v18, 54, v30
	v_mad_u64_u32 v[5:6], s[6:7], s11, v29, v[2:3]
	v_mov_b32_e32 v2, v4
	v_mad_u64_u32 v[6:7], s[6:7], s9, v30, v[2:3]
	v_mov_b32_e32 v2, v5
	v_mov_b32_e32 v5, s13
	v_add_co_u32_e32 v7, vcc, s12, v25
	v_mov_b32_e32 v4, v6
	v_addc_co_u32_e32 v8, vcc, v5, v26, vcc
	v_mad_u64_u32 v[5:6], s[6:7], s8, v9, 0
	v_lshlrev_b64 v[1:2], 4, v[1:2]
	v_add_u32_e32 v21, 0x5a, v30
	v_add_co_u32_e32 v28, vcc, v7, v1
	v_addc_co_u32_e32 v35, vcc, v8, v2, vcc
	v_lshlrev_b64 v[1:2], 4, v[3:4]
	v_mov_b32_e32 v3, v6
	v_mad_u64_u32 v[3:4], s[6:7], s9, v9, v[3:4]
	v_add_co_u32_e32 v9, vcc, v28, v1
	v_mov_b32_e32 v6, v3
	v_add_u32_e32 v3, 36, v30
	v_mad_u64_u32 v[11:12], s[6:7], s8, v3, 0
	v_addc_co_u32_e32 v10, vcc, v35, v2, vcc
	v_lshlrev_b64 v[1:2], 4, v[5:6]
	v_add_co_u32_e32 v13, vcc, v28, v1
	v_mov_b32_e32 v1, v12
	v_mad_u64_u32 v[15:16], s[6:7], s9, v3, v[1:2]
	v_mad_u64_u32 v[16:17], s[6:7], s8, v18, 0
	v_mov_b32_e32 v12, v15
	v_addc_co_u32_e32 v14, vcc, v35, v2, vcc
	global_load_dwordx4 v[1:4], v[9:10], off
	global_load_dwordx4 v[5:8], v[13:14], off
	v_lshlrev_b64 v[9:10], 4, v[11:12]
	v_mov_b32_e32 v11, v17
	v_mad_u64_u32 v[11:12], s[6:7], s9, v18, v[11:12]
	v_add_u32_e32 v18, 0x48, v30
	v_mad_u64_u32 v[12:13], s[6:7], s8, v18, 0
	v_add_co_u32_e32 v14, vcc, v28, v9
	v_mov_b32_e32 v17, v11
	v_mov_b32_e32 v11, v13
	v_addc_co_u32_e32 v15, vcc, v35, v10, vcc
	v_lshlrev_b64 v[9:10], 4, v[16:17]
	v_mad_u64_u32 v[16:17], s[6:7], s9, v18, v[11:12]
	v_mad_u64_u32 v[17:18], s[6:7], s8, v21, 0
	v_add_co_u32_e32 v19, vcc, v28, v9
	v_mov_b32_e32 v11, v18
	v_mad_u64_u32 v[31:32], s[6:7], s9, v21, v[11:12]
	v_mov_b32_e32 v13, v16
	v_addc_co_u32_e32 v20, vcc, v35, v10, vcc
	v_lshlrev_b64 v[9:10], 4, v[12:13]
	v_mov_b32_e32 v18, v31
	v_add_co_u32_e32 v32, vcc, v28, v9
	v_addc_co_u32_e32 v33, vcc, v35, v10, vcc
	global_load_dwordx4 v[9:12], v[14:15], off
	global_load_dwordx4 v[21:24], v[19:20], off
	v_lshlrev_b64 v[13:14], 4, v[17:18]
	v_add_co_u32_e32 v34, vcc, v28, v13
	v_addc_co_u32_e32 v35, vcc, v35, v14, vcc
	global_load_dwordx4 v[13:16], v[32:33], off
	global_load_dwordx4 v[17:20], v[34:35], off
.LBB0_16:
	s_or_b64 exec, exec, s[4:5]
.LBB0_17:
	s_waitcnt vmcnt(0)
	v_add_f64 v[35:36], v[19:20], v[23:24]
	v_add_f64 v[37:38], v[17:18], v[21:22]
	;; [unrolled: 1-line block ×4, first 2 shown]
	v_add_f64 v[23:24], v[23:24], -v[19:20]
	v_add_f64 v[21:22], v[21:22], -v[17:18]
	s_mov_b32 s4, 0xe8584caa
	s_mov_b32 s5, 0xbfebb67a
	v_fma_f64 v[7:8], v[35:36], -0.5, v[7:8]
	v_fma_f64 v[5:6], v[37:38], -0.5, v[5:6]
	s_mov_b32 s7, 0x3febb67a
	s_mov_b32 s6, s4
	v_add_f64 v[31:32], v[9:10], v[1:2]
	v_add_f64 v[33:34], v[11:12], v[3:4]
	;; [unrolled: 1-line block ×3, first 2 shown]
	v_add_f64 v[41:42], v[11:12], -v[15:16]
	v_add_f64 v[11:12], v[15:16], v[11:12]
	v_fma_f64 v[35:36], v[21:22], s[6:7], v[7:8]
	v_fma_f64 v[37:38], v[23:24], s[4:5], v[5:6]
	;; [unrolled: 1-line block ×3, first 2 shown]
	v_add_f64 v[31:32], v[13:14], v[31:32]
	v_add_f64 v[15:16], v[15:16], v[33:34]
	v_add_f64 v[9:10], v[9:10], -v[13:14]
	v_fma_f64 v[13:14], v[39:40], -0.5, v[1:2]
	v_fma_f64 v[11:12], v[11:12], -0.5, v[3:4]
	v_mul_f64 v[21:22], v[35:36], s[4:5]
	v_mul_f64 v[33:34], v[37:38], s[6:7]
	v_fma_f64 v[5:6], v[23:24], s[6:7], v[5:6]
	v_mul_f64 v[23:24], v[7:8], s[4:5]
	v_mul_f64 v[7:8], v[7:8], -0.5
	v_add_f64 v[17:18], v[17:18], v[43:44]
	v_add_f64 v[19:20], v[19:20], v[45:46]
	v_fma_f64 v[39:40], v[9:10], s[4:5], v[11:12]
	v_fma_f64 v[21:22], v[37:38], 0.5, v[21:22]
	v_fma_f64 v[33:34], v[35:36], 0.5, v[33:34]
	v_fma_f64 v[35:36], v[41:42], s[4:5], v[13:14]
	v_fma_f64 v[37:38], v[9:10], s[6:7], v[11:12]
	;; [unrolled: 1-line block ×3, first 2 shown]
	v_fma_f64 v[41:42], v[5:6], -0.5, v[23:24]
	v_fma_f64 v[43:44], v[5:6], s[6:7], v[7:8]
	v_add_f64 v[1:2], v[17:18], v[31:32]
	v_add_f64 v[3:4], v[19:20], v[15:16]
	v_add_f64 v[17:18], v[31:32], -v[17:18]
	v_add_f64 v[19:20], v[15:16], -v[19:20]
	v_add_f64 v[5:6], v[35:36], v[21:22]
	v_add_f64 v[7:8], v[37:38], v[33:34]
	v_add_f64 v[9:10], v[35:36], -v[21:22]
	v_add_f64 v[11:12], v[37:38], -v[33:34]
	;; [unrolled: 4-line block ×3, first 2 shown]
	v_lshlrev_b32_e32 v31, 4, v29
	s_and_saveexec_b64 s[4:5], s[2:3]
	s_cbranch_execz .LBB0_19
; %bb.18:
	v_mul_u32_u24_e32 v28, 0x60, v30
	v_lshlrev_b32_e32 v28, 4, v28
	v_add3_u32 v28, 0, v28, v31
	ds_write_b128 v28, v[1:4]
	ds_write_b128 v28, v[5:8] offset:256
	ds_write_b128 v28, v[21:24] offset:512
	;; [unrolled: 1-line block ×5, first 2 shown]
.LBB0_19:
	s_or_b64 exec, exec, s[4:5]
	v_lshlrev_b32_e32 v32, 8, v30
	s_waitcnt lgkmcnt(0)
	s_barrier
	s_and_saveexec_b64 s[4:5], s[2:3]
	s_cbranch_execz .LBB0_21
; %bb.20:
	v_add3_u32 v13, 0, v32, v31
	ds_read_b128 v[1:4], v13
	ds_read_b128 v[5:8], v13 offset:4608
	ds_read_b128 v[21:24], v13 offset:9216
	;; [unrolled: 1-line block ×5, first 2 shown]
.LBB0_21:
	s_or_b64 exec, exec, s[4:5]
	s_waitcnt lgkmcnt(0)
	s_barrier
	s_and_saveexec_b64 s[4:5], s[2:3]
	s_cbranch_execz .LBB0_23
; %bb.22:
	v_mul_lo_u16_e32 v28, 43, v30
	v_lshrrev_b16_e32 v28, 8, v28
	v_mul_lo_u16_e32 v33, 6, v28
	v_sub_u16_e32 v33, v30, v33
	v_mul_lo_u16_e32 v34, 5, v33
	v_mov_b32_e32 v35, 4
	v_lshlrev_b32_sdwa v46, v35, v34 dst_sel:DWORD dst_unused:UNUSED_PAD src0_sel:DWORD src1_sel:BYTE_0
	global_load_dwordx4 v[34:37], v46, s[16:17] offset:16
	global_load_dwordx4 v[38:41], v46, s[16:17]
	s_mov_b32 s2, 0xe8584caa
	s_mov_b32 s3, 0xbfebb67a
	;; [unrolled: 1-line block ×3, first 2 shown]
	v_mad_legacy_u16 v28, v28, 36, v33
	v_mov_b32_e32 v48, 8
	v_lshlrev_b32_sdwa v28, v48, v28 dst_sel:DWORD dst_unused:UNUSED_PAD src0_sel:DWORD src1_sel:BYTE_0
	v_add3_u32 v28, 0, v28, v31
	s_waitcnt vmcnt(1)
	v_mul_f64 v[42:43], v[21:22], v[36:37]
	v_mul_f64 v[36:37], v[23:24], v[36:37]
	v_fma_f64 v[42:43], v[23:24], v[34:35], -v[42:43]
	v_fma_f64 v[34:35], v[21:22], v[34:35], v[36:37]
	global_load_dwordx4 v[21:24], v46, s[16:17] offset:32
	s_waitcnt vmcnt(0)
	v_mul_f64 v[36:37], v[17:18], v[23:24]
	v_mul_f64 v[23:24], v[19:20], v[23:24]
	v_fma_f64 v[36:37], v[19:20], v[21:22], -v[36:37]
	v_fma_f64 v[44:45], v[17:18], v[21:22], v[23:24]
	global_load_dwordx4 v[17:20], v46, s[16:17] offset:64
	global_load_dwordx4 v[21:24], v46, s[16:17] offset:48
	s_waitcnt vmcnt(1)
	v_mul_f64 v[46:47], v[13:14], v[19:20]
	v_mul_f64 v[19:20], v[15:16], v[19:20]
	v_fma_f64 v[15:16], v[15:16], v[17:18], -v[46:47]
	v_fma_f64 v[13:14], v[13:14], v[17:18], v[19:20]
	v_mul_f64 v[17:18], v[5:6], v[40:41]
	v_mul_f64 v[19:20], v[7:8], v[40:41]
	s_waitcnt vmcnt(0)
	v_mul_f64 v[40:41], v[9:10], v[23:24]
	v_mul_f64 v[23:24], v[11:12], v[23:24]
	v_add_f64 v[46:47], v[1:2], v[34:35]
	v_fma_f64 v[7:8], v[7:8], v[38:39], -v[17:18]
	v_add_f64 v[17:18], v[36:37], v[15:16]
	v_fma_f64 v[5:6], v[5:6], v[38:39], v[19:20]
	v_fma_f64 v[11:12], v[11:12], v[21:22], -v[40:41]
	v_fma_f64 v[9:10], v[9:10], v[21:22], v[23:24]
	v_add_f64 v[19:20], v[44:45], v[13:14]
	v_add_f64 v[21:22], v[44:45], -v[13:14]
	v_add_f64 v[23:24], v[3:4], v[42:43]
	v_add_f64 v[38:39], v[7:8], v[36:37]
	v_fma_f64 v[7:8], v[17:18], -0.5, v[7:8]
	v_add_f64 v[40:41], v[5:6], v[44:45]
	v_add_f64 v[44:45], v[42:43], v[11:12]
	v_add_f64 v[36:37], v[36:37], -v[15:16]
	v_add_f64 v[17:18], v[42:43], -v[11:12]
	v_add_f64 v[42:43], v[34:35], v[9:10]
	v_fma_f64 v[5:6], v[19:20], -0.5, v[5:6]
	v_add_f64 v[33:34], v[34:35], -v[9:10]
	v_fma_f64 v[19:20], v[21:22], s[2:3], v[7:8]
	v_fma_f64 v[7:8], v[21:22], s[6:7], v[7:8]
	v_add_f64 v[11:12], v[23:24], v[11:12]
	v_fma_f64 v[3:4], v[44:45], -0.5, v[3:4]
	v_add_f64 v[15:16], v[38:39], v[15:16]
	v_fma_f64 v[1:2], v[42:43], -0.5, v[1:2]
	v_fma_f64 v[21:22], v[36:37], s[6:7], v[5:6]
	v_fma_f64 v[5:6], v[36:37], s[2:3], v[5:6]
	v_mul_f64 v[23:24], v[19:20], -0.5
	v_mul_f64 v[35:36], v[7:8], 0.5
	v_mul_f64 v[7:8], v[7:8], s[2:3]
	v_mul_f64 v[19:20], v[19:20], s[2:3]
	v_add_f64 v[9:10], v[46:47], v[9:10]
	v_add_f64 v[13:14], v[40:41], v[13:14]
	v_fma_f64 v[37:38], v[33:34], s[2:3], v[3:4]
	v_fma_f64 v[33:34], v[33:34], s[6:7], v[3:4]
	;; [unrolled: 1-line block ×6, first 2 shown]
	v_fma_f64 v[35:36], v[5:6], 0.5, v[7:8]
	v_fma_f64 v[43:44], v[21:22], -0.5, v[19:20]
	v_add_f64 v[7:8], v[11:12], v[15:16]
	v_add_f64 v[5:6], v[9:10], v[13:14]
	v_add_f64 v[3:4], v[11:12], -v[15:16]
	v_add_f64 v[1:2], v[9:10], -v[13:14]
	;; [unrolled: 1-line block ×4, first 2 shown]
	v_add_f64 v[23:24], v[33:34], v[23:24]
	v_add_f64 v[21:22], v[41:42], v[35:36]
	;; [unrolled: 1-line block ×4, first 2 shown]
	v_add_f64 v[13:14], v[41:42], -v[35:36]
	v_add_f64 v[9:10], v[39:40], -v[43:44]
	ds_write_b128 v28, v[5:8]
	ds_write_b128 v28, v[1:4] offset:4608
	ds_write_b128 v28, v[21:24] offset:1536
	;; [unrolled: 1-line block ×5, first 2 shown]
.LBB0_23:
	s_or_b64 exec, exec, s[4:5]
	v_mov_b32_e32 v28, s19
	v_cmp_gt_u64_e32 vcc, s[14:15], v[27:28]
	s_waitcnt lgkmcnt(0)
	s_or_b64 s[0:1], s[0:1], vcc
	s_barrier
	s_and_saveexec_b64 s[2:3], s[0:1]
	s_cbranch_execz .LBB0_25
; %bb.24:
	s_movk_i32 s0, 0x240
	v_subrev_u32_e32 v1, 36, v30
	v_cmp_gt_u32_e32 vcc, s0, v0
	v_cndmask_b32_e32 v23, v1, v30, vcc
	v_lshlrev_b32_e32 v1, 1, v23
	v_mov_b32_e32 v2, 0
	v_lshlrev_b64 v[1:2], 4, v[1:2]
	v_mov_b32_e32 v3, s17
	v_add_co_u32_e32 v9, vcc, s16, v1
	v_addc_co_u32_e32 v10, vcc, v3, v2, vcc
	global_load_dwordx4 v[1:4], v[9:10], off offset:480
	global_load_dwordx4 v[5:8], v[9:10], off offset:496
	v_mad_u64_u32 v[21:22], s[4:5], s10, v29, 0
	s_movk_i32 s4, 0x23f
	v_mov_b32_e32 v24, 0x6c
	v_cmp_lt_u32_e32 vcc, s4, v0
	v_cndmask_b32_e32 v0, 0, v24, vcc
	v_add3_u32 v17, 0, v32, v31
	v_add_u32_e32 v31, v23, v0
	v_mov_b32_e32 v27, s13
	v_add_co_u32_e32 v37, vcc, s12, v25
	v_mad_u64_u32 v[23:24], s[4:5], s8, v31, 0
	v_add_u32_e32 v32, 36, v31
	ds_read_b128 v[9:12], v17
	ds_read_b128 v[13:16], v17 offset:9216
	ds_read_b128 v[17:20], v17 offset:18432
	v_addc_co_u32_e32 v38, vcc, v27, v26, vcc
	v_add_u32_e32 v35, 0x48, v31
	v_mov_b32_e32 v0, v22
	v_mad_u64_u32 v[25:26], s[4:5], s8, v32, 0
	v_mad_u64_u32 v[27:28], s[4:5], s8, v35, 0
	s_mov_b32 s0, 0xe8584caa
	s_mov_b32 s1, 0xbfebb67a
	;; [unrolled: 1-line block ×4, first 2 shown]
	s_waitcnt vmcnt(1)
	v_mad_u64_u32 v[29:30], s[4:5], s11, v29, v[0:1]
	v_mov_b32_e32 v0, v24
	v_mad_u64_u32 v[30:31], s[4:5], s9, v31, v[0:1]
	v_mov_b32_e32 v0, v26
	v_mov_b32_e32 v24, v28
	;; [unrolled: 1-line block ×3, first 2 shown]
	v_mad_u64_u32 v[28:29], s[4:5], s9, v32, v[0:1]
	s_waitcnt lgkmcnt(1)
	v_mul_f64 v[31:32], v[13:14], v[3:4]
	s_waitcnt vmcnt(0) lgkmcnt(0)
	v_mul_f64 v[33:34], v[17:18], v[7:8]
	v_mul_f64 v[3:4], v[15:16], v[3:4]
	;; [unrolled: 1-line block ×3, first 2 shown]
	v_mad_u64_u32 v[35:36], s[4:5], s9, v35, v[24:25]
	v_mov_b32_e32 v24, v30
	v_mov_b32_e32 v26, v28
	v_fma_f64 v[15:16], v[15:16], v[1:2], -v[31:32]
	v_fma_f64 v[19:20], v[19:20], v[5:6], -v[33:34]
	v_fma_f64 v[0:1], v[13:14], v[1:2], v[3:4]
	v_fma_f64 v[4:5], v[17:18], v[5:6], v[7:8]
	v_lshlrev_b64 v[2:3], 4, v[23:24]
	v_lshlrev_b64 v[17:18], 4, v[25:26]
	;; [unrolled: 1-line block ×3, first 2 shown]
	v_mov_b32_e32 v28, v35
	v_add_f64 v[25:26], v[11:12], v[15:16]
	v_add_f64 v[6:7], v[15:16], v[19:20]
	v_add_f64 v[15:16], v[15:16], -v[19:20]
	v_add_f64 v[13:14], v[0:1], v[4:5]
	v_add_f64 v[23:24], v[0:1], -v[4:5]
	v_add_f64 v[0:1], v[9:10], v[0:1]
	v_add_co_u32_e32 v29, vcc, v37, v21
	v_addc_co_u32_e32 v30, vcc, v38, v22, vcc
	v_fma_f64 v[11:12], v[6:7], -0.5, v[11:12]
	v_fma_f64 v[8:9], v[13:14], -0.5, v[9:10]
	v_add_co_u32_e32 v13, vcc, v29, v2
	v_addc_co_u32_e32 v14, vcc, v30, v3, vcc
	v_add_f64 v[2:3], v[25:26], v[19:20]
	v_add_f64 v[0:1], v[0:1], v[4:5]
	v_fma_f64 v[6:7], v[23:24], s[0:1], v[11:12]
	v_fma_f64 v[10:11], v[23:24], s[2:3], v[11:12]
	;; [unrolled: 1-line block ×4, first 2 shown]
	v_lshlrev_b64 v[21:22], 4, v[27:28]
	v_add_co_u32_e32 v15, vcc, v29, v17
	v_addc_co_u32_e32 v16, vcc, v30, v18, vcc
	v_add_co_u32_e32 v17, vcc, v29, v21
	v_addc_co_u32_e32 v18, vcc, v30, v22, vcc
	global_store_dwordx4 v[13:14], v[0:3], off
	global_store_dwordx4 v[15:16], v[8:11], off
	;; [unrolled: 1-line block ×3, first 2 shown]
.LBB0_25:
	s_endpgm
	.section	.rodata,"a",@progbits
	.p2align	6, 0x0
	.amdhsa_kernel fft_rtc_back_len108_factors_6_6_3_wgs_576_tpt_36_dp_ip_CI_sbcc_dirReg
		.amdhsa_group_segment_fixed_size 0
		.amdhsa_private_segment_fixed_size 0
		.amdhsa_kernarg_size 96
		.amdhsa_user_sgpr_count 6
		.amdhsa_user_sgpr_private_segment_buffer 1
		.amdhsa_user_sgpr_dispatch_ptr 0
		.amdhsa_user_sgpr_queue_ptr 0
		.amdhsa_user_sgpr_kernarg_segment_ptr 1
		.amdhsa_user_sgpr_dispatch_id 0
		.amdhsa_user_sgpr_flat_scratch_init 0
		.amdhsa_user_sgpr_private_segment_size 0
		.amdhsa_uses_dynamic_stack 0
		.amdhsa_system_sgpr_private_segment_wavefront_offset 0
		.amdhsa_system_sgpr_workgroup_id_x 1
		.amdhsa_system_sgpr_workgroup_id_y 0
		.amdhsa_system_sgpr_workgroup_id_z 0
		.amdhsa_system_sgpr_workgroup_info 0
		.amdhsa_system_vgpr_workitem_id 0
		.amdhsa_next_free_vgpr 49
		.amdhsa_next_free_sgpr 41
		.amdhsa_reserve_vcc 1
		.amdhsa_reserve_flat_scratch 0
		.amdhsa_float_round_mode_32 0
		.amdhsa_float_round_mode_16_64 0
		.amdhsa_float_denorm_mode_32 3
		.amdhsa_float_denorm_mode_16_64 3
		.amdhsa_dx10_clamp 1
		.amdhsa_ieee_mode 1
		.amdhsa_fp16_overflow 0
		.amdhsa_exception_fp_ieee_invalid_op 0
		.amdhsa_exception_fp_denorm_src 0
		.amdhsa_exception_fp_ieee_div_zero 0
		.amdhsa_exception_fp_ieee_overflow 0
		.amdhsa_exception_fp_ieee_underflow 0
		.amdhsa_exception_fp_ieee_inexact 0
		.amdhsa_exception_int_div_zero 0
	.end_amdhsa_kernel
	.text
.Lfunc_end0:
	.size	fft_rtc_back_len108_factors_6_6_3_wgs_576_tpt_36_dp_ip_CI_sbcc_dirReg, .Lfunc_end0-fft_rtc_back_len108_factors_6_6_3_wgs_576_tpt_36_dp_ip_CI_sbcc_dirReg
                                        ; -- End function
	.section	.AMDGPU.csdata,"",@progbits
; Kernel info:
; codeLenInByte = 4032
; NumSgprs: 45
; NumVgprs: 49
; ScratchSize: 0
; MemoryBound: 1
; FloatMode: 240
; IeeeMode: 1
; LDSByteSize: 0 bytes/workgroup (compile time only)
; SGPRBlocks: 5
; VGPRBlocks: 12
; NumSGPRsForWavesPerEU: 45
; NumVGPRsForWavesPerEU: 49
; Occupancy: 4
; WaveLimiterHint : 1
; COMPUTE_PGM_RSRC2:SCRATCH_EN: 0
; COMPUTE_PGM_RSRC2:USER_SGPR: 6
; COMPUTE_PGM_RSRC2:TRAP_HANDLER: 0
; COMPUTE_PGM_RSRC2:TGID_X_EN: 1
; COMPUTE_PGM_RSRC2:TGID_Y_EN: 0
; COMPUTE_PGM_RSRC2:TGID_Z_EN: 0
; COMPUTE_PGM_RSRC2:TIDIG_COMP_CNT: 0
	.type	__hip_cuid_4d65d155c2a05547,@object ; @__hip_cuid_4d65d155c2a05547
	.section	.bss,"aw",@nobits
	.globl	__hip_cuid_4d65d155c2a05547
__hip_cuid_4d65d155c2a05547:
	.byte	0                               ; 0x0
	.size	__hip_cuid_4d65d155c2a05547, 1

	.ident	"AMD clang version 19.0.0git (https://github.com/RadeonOpenCompute/llvm-project roc-6.4.0 25133 c7fe45cf4b819c5991fe208aaa96edf142730f1d)"
	.section	".note.GNU-stack","",@progbits
	.addrsig
	.addrsig_sym __hip_cuid_4d65d155c2a05547
	.amdgpu_metadata
---
amdhsa.kernels:
  - .args:
      - .actual_access:  read_only
        .address_space:  global
        .offset:         0
        .size:           8
        .value_kind:     global_buffer
      - .address_space:  global
        .offset:         8
        .size:           8
        .value_kind:     global_buffer
      - .offset:         16
        .size:           8
        .value_kind:     by_value
      - .actual_access:  read_only
        .address_space:  global
        .offset:         24
        .size:           8
        .value_kind:     global_buffer
      - .actual_access:  read_only
        .address_space:  global
        .offset:         32
        .size:           8
        .value_kind:     global_buffer
      - .offset:         40
        .size:           8
        .value_kind:     by_value
      - .actual_access:  read_only
        .address_space:  global
        .offset:         48
        .size:           8
        .value_kind:     global_buffer
      - .actual_access:  read_only
        .address_space:  global
        .offset:         56
        .size:           8
        .value_kind:     global_buffer
      - .offset:         64
        .size:           4
        .value_kind:     by_value
      - .actual_access:  read_only
        .address_space:  global
        .offset:         72
        .size:           8
        .value_kind:     global_buffer
      - .actual_access:  read_only
        .address_space:  global
        .offset:         80
        .size:           8
        .value_kind:     global_buffer
      - .address_space:  global
        .offset:         88
        .size:           8
        .value_kind:     global_buffer
    .group_segment_fixed_size: 0
    .kernarg_segment_align: 8
    .kernarg_segment_size: 96
    .language:       OpenCL C
    .language_version:
      - 2
      - 0
    .max_flat_workgroup_size: 576
    .name:           fft_rtc_back_len108_factors_6_6_3_wgs_576_tpt_36_dp_ip_CI_sbcc_dirReg
    .private_segment_fixed_size: 0
    .sgpr_count:     45
    .sgpr_spill_count: 0
    .symbol:         fft_rtc_back_len108_factors_6_6_3_wgs_576_tpt_36_dp_ip_CI_sbcc_dirReg.kd
    .uniform_work_group_size: 1
    .uses_dynamic_stack: false
    .vgpr_count:     49
    .vgpr_spill_count: 0
    .wavefront_size: 64
amdhsa.target:   amdgcn-amd-amdhsa--gfx906
amdhsa.version:
  - 1
  - 2
...

	.end_amdgpu_metadata
